;; amdgpu-corpus repo=ROCm/rocFFT kind=compiled arch=gfx906 opt=O3
	.text
	.amdgcn_target "amdgcn-amd-amdhsa--gfx906"
	.amdhsa_code_object_version 6
	.protected	bluestein_single_back_len198_dim1_sp_op_CI_CI ; -- Begin function bluestein_single_back_len198_dim1_sp_op_CI_CI
	.globl	bluestein_single_back_len198_dim1_sp_op_CI_CI
	.p2align	8
	.type	bluestein_single_back_len198_dim1_sp_op_CI_CI,@function
bluestein_single_back_len198_dim1_sp_op_CI_CI: ; @bluestein_single_back_len198_dim1_sp_op_CI_CI
; %bb.0:
	v_mul_u32_u24_e32 v1, 0xba3, v0
	s_load_dwordx4 s[0:3], s[4:5], 0x28
	v_lshrrev_b32_e32 v1, 16, v1
	v_mad_u64_u32 v[36:37], s[6:7], s6, 5, v[1:2]
	v_mov_b32_e32 v37, 0
	s_waitcnt lgkmcnt(0)
	v_cmp_gt_u64_e32 vcc, s[0:1], v[36:37]
	s_and_saveexec_b64 s[0:1], vcc
	s_cbranch_execz .LBB0_23
; %bb.1:
	s_mov_b32 s0, 0xcccccccd
	v_mul_hi_u32 v2, v36, s0
	v_mul_lo_u16_e32 v1, 22, v1
	s_load_dwordx2 s[8:9], s[4:5], 0x0
	s_load_dwordx2 s[10:11], s[4:5], 0x38
	v_sub_u16_e32 v54, v0, v1
	v_lshrrev_b32_e32 v0, 2, v2
	v_lshl_add_u32 v0, v0, 2, v0
	v_sub_u32_e32 v0, v36, v0
	v_mul_u32_u24_e32 v28, 0xc6, v0
	v_cmp_gt_u16_e32 vcc, 18, v54
	v_lshlrev_b32_e32 v53, 3, v54
	v_lshlrev_b32_e32 v55, 3, v28
	s_and_saveexec_b64 s[6:7], vcc
	s_cbranch_execz .LBB0_3
; %bb.2:
	s_load_dwordx2 s[0:1], s[4:5], 0x18
	s_waitcnt lgkmcnt(0)
	s_load_dwordx4 s[12:15], s[0:1], 0x0
	s_waitcnt lgkmcnt(0)
	v_mad_u64_u32 v[0:1], s[0:1], s14, v36, 0
	v_mad_u64_u32 v[2:3], s[0:1], s12, v54, 0
	;; [unrolled: 1-line block ×4, first 2 shown]
	v_mov_b32_e32 v1, v4
	v_lshlrev_b64 v[0:1], 3, v[0:1]
	v_mov_b32_e32 v3, v5
	v_mov_b32_e32 v6, s3
	v_lshlrev_b64 v[2:3], 3, v[2:3]
	v_add_co_u32_e64 v0, s[0:1], s2, v0
	v_addc_co_u32_e64 v1, s[0:1], v6, v1, s[0:1]
	v_add_co_u32_e64 v0, s[0:1], v0, v2
	v_addc_co_u32_e64 v1, s[0:1], v1, v3, s[0:1]
	s_mul_i32 s0, s13, 0x90
	s_mul_hi_u32 s1, s12, 0x90
	s_add_i32 s2, s1, s0
	s_mul_i32 s3, s12, 0x90
	v_mov_b32_e32 v3, s2
	v_add_co_u32_e64 v2, s[0:1], s3, v0
	v_addc_co_u32_e64 v3, s[0:1], v1, v3, s[0:1]
	v_mov_b32_e32 v5, s2
	v_add_co_u32_e64 v4, s[0:1], s3, v2
	v_addc_co_u32_e64 v5, s[0:1], v3, v5, s[0:1]
	;; [unrolled: 3-line block ×3, first 2 shown]
	global_load_dwordx2 v[8:9], v[0:1], off
	global_load_dwordx2 v[10:11], v[2:3], off
	;; [unrolled: 1-line block ×4, first 2 shown]
	global_load_dwordx2 v[16:17], v53, s[8:9]
	global_load_dwordx2 v[18:19], v53, s[8:9] offset:144
	global_load_dwordx2 v[20:21], v53, s[8:9] offset:288
	;; [unrolled: 1-line block ×3, first 2 shown]
	v_mov_b32_e32 v1, s2
	v_add_co_u32_e64 v0, s[0:1], s3, v6
	v_addc_co_u32_e64 v1, s[0:1], v7, v1, s[0:1]
	global_load_dwordx2 v[2:3], v[0:1], off
	global_load_dwordx2 v[4:5], v53, s[8:9] offset:576
	v_mov_b32_e32 v6, s2
	v_add_co_u32_e64 v0, s[0:1], s3, v0
	v_addc_co_u32_e64 v1, s[0:1], v1, v6, s[0:1]
	global_load_dwordx2 v[6:7], v[0:1], off
	v_mov_b32_e32 v24, s2
	v_add_co_u32_e64 v0, s[0:1], s3, v0
	v_addc_co_u32_e64 v1, s[0:1], v1, v24, s[0:1]
	global_load_dwordx2 v[24:25], v[0:1], off
	;; [unrolled: 4-line block ×3, first 2 shown]
	global_load_dwordx2 v[29:30], v53, s[8:9] offset:720
	global_load_dwordx2 v[31:32], v53, s[8:9] offset:864
	;; [unrolled: 1-line block ×3, first 2 shown]
	v_mov_b32_e32 v35, s2
	v_add_co_u32_e64 v0, s[0:1], s3, v0
	v_addc_co_u32_e64 v1, s[0:1], v1, v35, s[0:1]
	global_load_dwordx2 v[37:38], v[0:1], off
	v_add_co_u32_e64 v0, s[0:1], s3, v0
	v_addc_co_u32_e64 v1, s[0:1], v1, v35, s[0:1]
	global_load_dwordx2 v[39:40], v53, s[8:9] offset:1152
	global_load_dwordx2 v[41:42], v[0:1], off
	global_load_dwordx2 v[43:44], v53, s[8:9] offset:1296
	v_add_co_u32_e64 v0, s[0:1], s3, v0
	v_addc_co_u32_e64 v1, s[0:1], v1, v35, s[0:1]
	global_load_dwordx2 v[45:46], v53, s[8:9] offset:1440
	global_load_dwordx2 v[47:48], v[0:1], off
	v_lshl_add_u32 v35, v54, 3, v55
	s_waitcnt vmcnt(17)
	v_mul_f32_e32 v0, v9, v17
	v_mul_f32_e32 v1, v8, v17
	v_fmac_f32_e32 v0, v8, v16
	v_fma_f32 v1, v9, v16, -v1
	ds_write_b64 v35, v[0:1]
	s_waitcnt vmcnt(16)
	v_mul_f32_e32 v0, v11, v19
	v_mul_f32_e32 v1, v10, v19
	s_waitcnt vmcnt(15)
	v_mul_f32_e32 v8, v13, v21
	v_mul_f32_e32 v9, v12, v21
	v_fmac_f32_e32 v0, v10, v18
	v_add_u32_e32 v16, v55, v53
	v_fma_f32 v1, v11, v18, -v1
	v_fmac_f32_e32 v8, v12, v20
	v_fma_f32 v9, v13, v20, -v9
	ds_write2_b64 v16, v[0:1], v[8:9] offset0:18 offset1:36
	s_waitcnt vmcnt(12)
	v_mul_f32_e32 v8, v3, v5
	v_mul_f32_e32 v0, v15, v23
	;; [unrolled: 1-line block ×3, first 2 shown]
	v_fmac_f32_e32 v8, v2, v4
	v_mul_f32_e32 v2, v2, v5
	v_fmac_f32_e32 v0, v14, v22
	v_fma_f32 v1, v15, v22, -v1
	v_fma_f32 v9, v3, v4, -v2
	ds_write2_b64 v16, v[0:1], v[8:9] offset0:54 offset1:72
	s_waitcnt vmcnt(8)
	v_mul_f32_e32 v0, v7, v30
	v_mul_f32_e32 v1, v6, v30
	s_waitcnt vmcnt(7)
	v_mul_f32_e32 v2, v25, v32
	v_mul_f32_e32 v3, v24, v32
	v_fmac_f32_e32 v0, v6, v29
	v_fma_f32 v1, v7, v29, -v1
	v_fmac_f32_e32 v2, v24, v31
	v_fma_f32 v3, v25, v31, -v3
	ds_write2_b64 v16, v[0:1], v[2:3] offset0:90 offset1:108
	s_waitcnt vmcnt(6)
	v_mul_f32_e32 v0, v27, v34
	v_mul_f32_e32 v1, v26, v34
	s_waitcnt vmcnt(4)
	v_mul_f32_e32 v2, v38, v40
	v_mul_f32_e32 v3, v37, v40
	v_fmac_f32_e32 v0, v26, v33
	v_fma_f32 v1, v27, v33, -v1
	v_fmac_f32_e32 v2, v37, v39
	;; [unrolled: 11-line block ×3, first 2 shown]
	v_fma_f32 v3, v48, v45, -v3
	ds_write2_b64 v16, v[0:1], v[2:3] offset0:162 offset1:180
.LBB0_3:
	s_or_b64 exec, exec, s[6:7]
	v_mov_b32_e32 v8, 0
	v_mov_b32_e32 v9, 0
	s_waitcnt lgkmcnt(0)
	s_barrier
	s_waitcnt lgkmcnt(0)
                                        ; implicit-def: $vgpr14
                                        ; implicit-def: $vgpr26
                                        ; implicit-def: $vgpr0
                                        ; implicit-def: $vgpr22
                                        ; implicit-def: $vgpr18
	s_and_saveexec_b64 s[0:1], vcc
	s_cbranch_execz .LBB0_5
; %bb.4:
	v_lshl_add_u32 v0, v28, 3, v53
	ds_read2_b64 v[8:11], v0 offset1:18
	ds_read2_b64 v[16:19], v0 offset0:36 offset1:54
	ds_read2_b64 v[20:23], v0 offset0:72 offset1:90
	;; [unrolled: 1-line block ×4, first 2 shown]
	ds_read_b64 v[0:1], v0 offset:1440
.LBB0_5:
	s_or_b64 exec, exec, s[0:1]
	s_waitcnt lgkmcnt(0)
	v_sub_f32_e32 v46, v11, v1
	v_mul_f32_e32 v33, 0xbf0a6770, v46
	v_sub_f32_e32 v51, v17, v27
	v_add_f32_e32 v29, v0, v10
	v_sub_f32_e32 v49, v10, v0
	v_mov_b32_e32 v2, v33
	v_mul_f32_e32 v38, 0xbf68dda4, v51
	v_add_f32_e32 v30, v1, v11
	s_mov_b32 s2, 0x3f575c64
	v_mul_f32_e32 v35, 0xbf0a6770, v49
	v_fmac_f32_e32 v2, 0x3f575c64, v29
	v_add_f32_e32 v31, v26, v16
	v_sub_f32_e32 v57, v16, v26
	v_mov_b32_e32 v4, v38
	v_add_f32_e32 v2, v2, v8
	v_fma_f32 v3, v30, s2, -v35
	s_mov_b32 s3, 0x3ed4b147
	v_add_f32_e32 v32, v27, v17
	v_mul_f32_e32 v41, 0xbf68dda4, v57
	v_fmac_f32_e32 v4, 0x3ed4b147, v31
	v_sub_f32_e32 v59, v19, v25
	v_add_f32_e32 v3, v3, v9
	v_add_f32_e32 v2, v4, v2
	v_fma_f32 v4, v32, s3, -v41
	v_mul_f32_e32 v44, 0xbf7d64f0, v59
	v_add_f32_e32 v3, v4, v3
	v_add_f32_e32 v34, v24, v18
	v_sub_f32_e32 v60, v18, v24
	v_mov_b32_e32 v4, v44
	s_mov_b32 s14, 0xbe11bafb
	v_add_f32_e32 v37, v25, v19
	v_mul_f32_e32 v45, 0xbf7d64f0, v60
	v_fmac_f32_e32 v4, 0xbe11bafb, v34
	v_sub_f32_e32 v62, v21, v15
	v_add_f32_e32 v2, v4, v2
	v_fma_f32 v4, v37, s14, -v45
	v_mul_f32_e32 v48, 0xbf4178ce, v62
	v_add_f32_e32 v3, v4, v3
	v_add_f32_e32 v39, v14, v20
	v_sub_f32_e32 v67, v20, v14
	v_mov_b32_e32 v4, v48
	s_mov_b32 s15, 0xbf27a4f4
	v_add_f32_e32 v42, v15, v21
	v_mul_f32_e32 v50, 0xbf4178ce, v67
	v_fmac_f32_e32 v4, 0xbf27a4f4, v39
	v_sub_f32_e32 v70, v23, v13
	v_add_f32_e32 v2, v4, v2
	v_fma_f32 v4, v42, s15, -v50
	v_mul_f32_e32 v52, 0xbe903f40, v70
	v_add_f32_e32 v3, v4, v3
	v_add_f32_e32 v43, v12, v22
	v_sub_f32_e32 v73, v22, v12
	v_mov_b32_e32 v4, v52
	s_mov_b32 s16, 0xbf75a155
	v_add_f32_e32 v47, v13, v23
	v_mul_f32_e32 v58, 0xbe903f40, v73
	v_fmac_f32_e32 v4, 0xbf75a155, v43
	v_mul_f32_e32 v40, 0xbf68dda4, v46
	v_add_f32_e32 v2, v4, v2
	v_fma_f32 v4, v47, s16, -v58
	v_add_f32_e32 v3, v4, v3
	v_mov_b32_e32 v4, v40
	v_mul_f32_e32 v61, 0xbf4178ce, v51
	v_fmac_f32_e32 v4, 0x3ed4b147, v29
	v_mov_b32_e32 v5, v61
	v_add_f32_e32 v4, v4, v8
	v_fmac_f32_e32 v5, 0xbf27a4f4, v31
	v_mul_f32_e32 v65, 0xbf68dda4, v49
	v_add_f32_e32 v4, v5, v4
	v_fma_f32 v5, v30, s3, -v65
	v_mul_f32_e32 v66, 0xbf4178ce, v57
	v_add_f32_e32 v5, v5, v9
	v_fma_f32 v6, v32, s15, -v66
	v_mul_f32_e32 v63, 0x3e903f40, v59
	v_add_f32_e32 v5, v6, v5
	v_mov_b32_e32 v6, v63
	v_fmac_f32_e32 v6, 0xbf75a155, v34
	v_mul_f32_e32 v69, 0x3e903f40, v60
	v_add_f32_e32 v4, v6, v4
	v_fma_f32 v6, v37, s16, -v69
	v_mul_f32_e32 v64, 0x3f7d64f0, v62
	v_add_f32_e32 v5, v6, v5
	v_mov_b32_e32 v6, v64
	v_fmac_f32_e32 v6, 0xbe11bafb, v39
	;; [unrolled: 7-line block ×3, first 2 shown]
	v_mul_f32_e32 v72, 0x3f0a6770, v73
	v_mul_f32_e32 v74, 0xbf7d64f0, v46
	v_fma_f32 v7, v47, s2, -v72
	v_add_f32_e32 v6, v6, v4
	v_mov_b32_e32 v4, v74
	v_mul_f32_e32 v75, 0x3e903f40, v51
	v_add_f32_e32 v7, v7, v5
	v_fmac_f32_e32 v4, 0xbe11bafb, v29
	v_mov_b32_e32 v5, v75
	v_add_f32_e32 v4, v4, v8
	v_fmac_f32_e32 v5, 0xbf75a155, v31
	v_mul_f32_e32 v76, 0x3f68dda4, v59
	v_add_f32_e32 v4, v5, v4
	v_mov_b32_e32 v5, v76
	v_fmac_f32_e32 v5, 0x3ed4b147, v34
	v_mul_f32_e32 v77, 0xbf0a6770, v62
	v_add_f32_e32 v4, v5, v4
	v_mov_b32_e32 v5, v77
	;; [unrolled: 4-line block ×3, first 2 shown]
	v_fmac_f32_e32 v5, 0xbf27a4f4, v43
	v_mul_f32_e32 v79, 0xbf7d64f0, v49
	v_add_f32_e32 v4, v5, v4
	v_fma_f32 v5, v30, s14, -v79
	v_mul_f32_e32 v80, 0x3e903f40, v57
	v_add_f32_e32 v5, v5, v9
	v_fma_f32 v56, v32, s16, -v80
	v_mul_f32_e32 v81, 0x3f68dda4, v60
	s_load_dwordx2 s[6:7], s[4:5], 0x20
	s_load_dwordx2 s[12:13], s[4:5], 0x8
	v_add_f32_e32 v5, v56, v5
	v_fma_f32 v56, v37, s3, -v81
	v_mul_f32_e32 v82, 0xbf0a6770, v67
	v_add_f32_e32 v5, v56, v5
	v_fma_f32 v56, v42, s2, -v82
	v_mul_f32_e32 v83, 0xbf4178ce, v73
	v_add_f32_e32 v5, v56, v5
	v_fma_f32 v56, v47, s15, -v83
	v_add_f32_e32 v5, v56, v5
	v_mul_lo_u16_e32 v56, 11, v54
	s_waitcnt lgkmcnt(0)
	s_barrier
	s_and_saveexec_b64 s[0:1], vcc
	s_cbranch_execz .LBB0_7
; %bb.6:
	v_mul_f32_e32 v86, 0xbf75a155, v30
	v_mov_b32_e32 v84, v86
	v_mul_f32_e32 v87, 0x3f575c64, v32
	v_fmac_f32_e32 v84, 0x3e903f40, v49
	v_mov_b32_e32 v85, v87
	v_add_f32_e32 v84, v84, v9
	v_fmac_f32_e32 v85, 0xbf0a6770, v57
	v_mul_f32_e32 v116, 0xbf27a4f4, v37
	v_add_f32_e32 v84, v85, v84
	v_mov_b32_e32 v85, v116
	v_fmac_f32_e32 v85, 0x3f4178ce, v60
	v_mul_f32_e32 v117, 0x3ed4b147, v42
	v_add_f32_e32 v84, v85, v84
	v_mov_b32_e32 v85, v117
	;; [unrolled: 4-line block ×4, first 2 shown]
	v_mul_f32_e32 v120, 0x3f0a6770, v51
	v_fmac_f32_e32 v84, 0xbf75a155, v29
	v_mov_b32_e32 v121, v120
	v_fmac_f32_e32 v86, 0xbe903f40, v49
	v_add_f32_e32 v84, v84, v8
	v_fmac_f32_e32 v121, 0x3f575c64, v31
	v_add_f32_e32 v86, v86, v9
	;; [unrolled: 2-line block ×3, first 2 shown]
	v_mul_f32_e32 v121, 0xbf4178ce, v59
	v_add_f32_e32 v86, v87, v86
	v_fmac_f32_e32 v116, 0xbf4178ce, v60
	v_mov_b32_e32 v122, v121
	v_add_f32_e32 v86, v116, v86
	v_fmac_f32_e32 v117, 0x3f68dda4, v67
	v_fmac_f32_e32 v122, 0xbf27a4f4, v34
	v_add_f32_e32 v86, v117, v86
	v_fmac_f32_e32 v118, 0xbf7d64f0, v73
	v_add_f32_e32 v84, v122, v84
	v_mul_f32_e32 v122, 0x3f68dda4, v62
	v_add_f32_e32 v87, v118, v86
	v_fma_f32 v86, v29, s16, -v119
	v_mov_b32_e32 v123, v122
	v_add_f32_e32 v86, v86, v8
	v_fma_f32 v116, v31, s2, -v120
	v_fmac_f32_e32 v123, 0x3ed4b147, v39
	v_add_f32_e32 v86, v116, v86
	v_fma_f32 v116, v34, s15, -v121
	v_add_f32_e32 v84, v123, v84
	v_mul_f32_e32 v123, 0xbf7d64f0, v70
	v_add_f32_e32 v86, v116, v86
	v_fma_f32 v116, v39, s3, -v122
	v_add_f32_e32 v86, v116, v86
	v_fma_f32 v116, v43, s14, -v123
	v_mul_f32_e32 v49, 0xbf4178ce, v49
	v_add_f32_e32 v86, v116, v86
	v_mov_b32_e32 v116, v49
	v_mul_f32_e32 v57, 0x3f7d64f0, v57
	v_fmac_f32_e32 v116, 0xbf27a4f4, v30
	v_mov_b32_e32 v117, v57
	v_add_f32_e32 v116, v116, v9
	v_fmac_f32_e32 v117, 0xbe11bafb, v32
	v_add_f32_e32 v116, v117, v116
	v_mul_f32_e32 v117, 0xbf0a6770, v60
	v_mov_b32_e32 v60, v117
	v_fmac_f32_e32 v60, 0x3f575c64, v37
	v_mul_f32_e32 v67, 0xbe903f40, v67
	v_add_f32_e32 v60, v60, v116
	v_mov_b32_e32 v116, v67
	v_fmac_f32_e32 v116, 0xbf75a155, v42
	v_mul_f32_e32 v73, 0x3f68dda4, v73
	v_add_f32_e32 v60, v116, v60
	;; [unrolled: 4-line block ×3, first 2 shown]
	v_fma_f32 v116, v29, s15, -v46
	v_mul_f32_e32 v51, 0x3f7d64f0, v51
	v_add_f32_e32 v116, v116, v8
	v_fma_f32 v118, v31, s14, -v51
	v_add_f32_e32 v116, v118, v116
	v_mul_f32_e32 v118, 0xbf0a6770, v59
	v_fma_f32 v59, v34, s2, -v118
	v_add_f32_e32 v59, v59, v116
	v_mul_f32_e32 v116, 0xbe903f40, v62
	v_fma_f32 v62, v39, s16, -v116
	v_mul_f32_e32 v70, 0x3f68dda4, v70
	v_mul_f32_e32 v93, 0xbe11bafb, v30
	v_add_f32_e32 v59, v62, v59
	v_fma_f32 v62, v43, s3, -v70
	v_mul_f32_e32 v99, 0xbf75a155, v32
	v_add_f32_e32 v59, v62, v59
	v_add_f32_e32 v62, v79, v93
	v_mul_f32_e32 v90, 0x3ed4b147, v29
	v_mul_f32_e32 v105, 0x3ed4b147, v37
	v_add_f32_e32 v62, v62, v9
	v_add_f32_e32 v79, v80, v99
	;; [unrolled: 1-line block ×3, first 2 shown]
	v_mul_f32_e32 v96, 0xbf27a4f4, v31
	v_mul_f32_e32 v111, 0x3f575c64, v42
	v_add_f32_e32 v62, v79, v62
	v_add_f32_e32 v79, v81, v105
	v_sub_f32_e32 v40, v90, v40
	v_add_f32_e32 v10, v16, v10
	v_mul_f32_e32 v102, 0xbf75a155, v34
	v_mul_f32_e32 v125, 0xbf27a4f4, v47
	v_add_f32_e32 v62, v79, v62
	v_add_f32_e32 v79, v82, v111
	;; [unrolled: 1-line block ×3, first 2 shown]
	v_sub_f32_e32 v61, v96, v61
	v_add_f32_e32 v10, v18, v10
	v_mul_f32_e32 v92, 0xbe11bafb, v29
	v_mul_f32_e32 v108, 0xbe11bafb, v39
	v_add_f32_e32 v62, v79, v62
	v_add_f32_e32 v79, v83, v125
	;; [unrolled: 1-line block ×3, first 2 shown]
	v_sub_f32_e32 v61, v102, v63
	v_add_f32_e32 v10, v20, v10
	v_mul_f32_e32 v89, 0x3f575c64, v30
	v_mul_f32_e32 v98, 0xbf75a155, v31
	;; [unrolled: 1-line block ×3, first 2 shown]
	v_add_f32_e32 v79, v79, v62
	v_sub_f32_e32 v62, v92, v74
	v_add_f32_e32 v40, v61, v40
	v_sub_f32_e32 v61, v108, v64
	v_add_f32_e32 v10, v22, v10
	v_mul_f32_e32 v95, 0x3ed4b147, v32
	v_mul_f32_e32 v104, 0x3ed4b147, v34
	v_mov_b32_e32 v124, v123
	v_add_f32_e32 v62, v62, v8
	v_sub_f32_e32 v74, v98, v75
	v_add_f32_e32 v40, v61, v40
	v_sub_f32_e32 v61, v114, v68
	v_add_f32_e32 v35, v35, v89
	v_add_f32_e32 v11, v11, v9
	;; [unrolled: 1-line block ×3, first 2 shown]
	v_mul_f32_e32 v101, 0xbe11bafb, v37
	v_mul_f32_e32 v110, 0x3f575c64, v39
	v_fmac_f32_e32 v124, 0xbe11bafb, v43
	v_add_f32_e32 v62, v74, v62
	v_sub_f32_e32 v74, v104, v76
	v_add_f32_e32 v61, v61, v40
	v_add_f32_e32 v35, v35, v9
	;; [unrolled: 1-line block ×5, first 2 shown]
	v_mul_f32_e32 v107, 0xbf27a4f4, v42
	v_add_f32_e32 v84, v124, v84
	v_mul_f32_e32 v124, 0xbf27a4f4, v43
	v_add_f32_e32 v62, v74, v62
	v_sub_f32_e32 v74, v110, v77
	v_add_f32_e32 v35, v40, v35
	v_add_f32_e32 v40, v45, v101
	v_add_f32_e32 v11, v19, v11
	v_add_f32_e32 v10, v24, v10
	v_mul_f32_e32 v88, 0x3f575c64, v29
	v_mul_f32_e32 v91, 0x3ed4b147, v30
	v_mul_f32_e32 v113, 0xbf75a155, v47
	v_add_f32_e32 v62, v74, v62
	v_sub_f32_e32 v74, v124, v78
	v_add_f32_e32 v35, v40, v35
	v_add_f32_e32 v40, v50, v107
	;; [unrolled: 1-line block ×4, first 2 shown]
	v_mul_f32_e32 v94, 0x3ed4b147, v31
	v_add_f32_e32 v78, v74, v62
	v_add_f32_e32 v62, v65, v91
	;; [unrolled: 1-line block ×4, first 2 shown]
	v_sub_f32_e32 v33, v88, v33
	v_add_f32_e32 v11, v23, v11
	v_add_f32_e32 v0, v0, v10
	v_fma_f32 v10, v30, s15, -v49
	v_mul_f32_e32 v97, 0xbf27a4f4, v32
	v_mul_f32_e32 v100, 0xbe11bafb, v34
	v_add_f32_e32 v62, v62, v9
	v_add_f32_e32 v41, v40, v35
	;; [unrolled: 1-line block ×3, first 2 shown]
	v_sub_f32_e32 v35, v94, v38
	v_add_f32_e32 v11, v13, v11
	v_add_f32_e32 v9, v10, v9
	v_fma_f32 v10, v32, s14, -v57
	v_fmac_f32_e32 v46, 0xbf27a4f4, v29
	v_mul_f32_e32 v103, 0xbf75a155, v37
	v_mul_f32_e32 v106, 0xbf27a4f4, v39
	v_add_f32_e32 v65, v66, v97
	v_add_f32_e32 v33, v35, v33
	v_sub_f32_e32 v35, v100, v44
	v_add_f32_e32 v11, v15, v11
	v_add_f32_e32 v9, v10, v9
	v_fma_f32 v10, v37, s2, -v117
	v_add_f32_e32 v8, v46, v8
	v_fmac_f32_e32 v51, 0xbe11bafb, v31
	v_mul_f32_e32 v109, 0xbe11bafb, v42
	v_mul_f32_e32 v112, 0xbf75a155, v43
	v_add_f32_e32 v62, v65, v62
	v_add_f32_e32 v65, v69, v103
	;; [unrolled: 1-line block ×3, first 2 shown]
	v_sub_f32_e32 v35, v106, v48
	v_add_f32_e32 v11, v25, v11
	v_add_f32_e32 v9, v10, v9
	v_fma_f32 v10, v42, s16, -v67
	v_add_f32_e32 v8, v51, v8
	v_fmac_f32_e32 v118, 0x3f575c64, v34
	v_mul_f32_e32 v115, 0x3f575c64, v47
	v_add_f32_e32 v62, v65, v62
	v_add_f32_e32 v65, v71, v109
	;; [unrolled: 1-line block ×3, first 2 shown]
	v_sub_f32_e32 v35, v112, v52
	v_add_f32_e32 v11, v27, v11
	v_add_f32_e32 v9, v10, v9
	v_fma_f32 v10, v47, s3, -v73
	v_add_f32_e32 v8, v118, v8
	v_fmac_f32_e32 v116, 0xbf75a155, v39
	v_add_f32_e32 v62, v65, v62
	v_add_f32_e32 v65, v72, v115
	v_add_f32_e32 v40, v35, v33
	v_add_f32_e32 v1, v1, v11
	v_add_f32_e32 v9, v10, v9
	v_add_f32_e32 v8, v116, v8
	v_fmac_f32_e32 v70, 0x3ed4b147, v43
	v_add_lshl_u32 v10, v28, v56, 3
	v_add_f32_e32 v62, v65, v62
	v_add_f32_e32 v8, v70, v8
	ds_write2_b64 v10, v[0:1], v[40:41] offset1:1
	ds_write2_b64 v10, v[61:62], v[78:79] offset0:2 offset1:3
	ds_write2_b64 v10, v[59:60], v[86:87] offset0:4 offset1:5
	;; [unrolled: 1-line block ×4, first 2 shown]
	ds_write_b64 v10, v[2:3] offset:80
.LBB0_7:
	s_or_b64 exec, exec, s[0:1]
	v_add_lshl_u32 v58, v28, v54, 3
	s_waitcnt lgkmcnt(0)
	s_barrier
	ds_read2_b64 v[8:11], v58 offset1:22
	ds_read2_b64 v[16:19], v58 offset0:99 offset1:121
	ds_read2_b64 v[12:15], v58 offset0:44 offset1:66
	ds_read2_b64 v[20:23], v58 offset0:143 offset1:165
	v_cmp_gt_u16_e64 s[0:1], 11, v54
	s_and_saveexec_b64 s[2:3], s[0:1]
	s_cbranch_execz .LBB0_9
; %bb.8:
	ds_read2_b64 v[4:7], v58 offset0:88 offset1:187
.LBB0_9:
	s_or_b64 exec, exec, s[2:3]
	v_add_co_u32_e64 v0, s[2:3], -11, v54
	v_addc_co_u32_e64 v1, s[2:3], 0, -1, s[2:3]
	v_cndmask_b32_e64 v26, v1, 0, s[0:1]
	v_cndmask_b32_e64 v25, v0, v54, s[0:1]
	v_lshlrev_b64 v[0:1], 3, v[25:26]
	v_mov_b32_e32 v24, s13
	v_add_co_u32_e64 v0, s[2:3], s12, v0
	v_addc_co_u32_e64 v1, s[2:3], v24, v1, s[2:3]
	v_add_u16_e32 v24, 22, v54
	s_movk_i32 s2, 0x75
	v_add_u16_e32 v33, 0x42, v54
	v_mul_lo_u16_sdwa v26, v24, s2 dst_sel:DWORD dst_unused:UNUSED_PAD src0_sel:BYTE_0 src1_sel:DWORD
	v_add_u16_e32 v30, 44, v54
	v_mul_lo_u16_sdwa v34, v33, s2 dst_sel:DWORD dst_unused:UNUSED_PAD src0_sel:BYTE_0 src1_sel:DWORD
	v_sub_u16_sdwa v27, v24, v26 dst_sel:DWORD dst_unused:UNUSED_PAD src0_sel:DWORD src1_sel:BYTE_1
	v_mul_lo_u16_sdwa v31, v30, s2 dst_sel:DWORD dst_unused:UNUSED_PAD src0_sel:BYTE_0 src1_sel:DWORD
	v_sub_u16_sdwa v35, v33, v34 dst_sel:DWORD dst_unused:UNUSED_PAD src0_sel:DWORD src1_sel:BYTE_1
	v_lshrrev_b16_e32 v27, 1, v27
	v_sub_u16_sdwa v32, v30, v31 dst_sel:DWORD dst_unused:UNUSED_PAD src0_sel:DWORD src1_sel:BYTE_1
	v_lshrrev_b16_e32 v35, 1, v35
	v_and_b32_e32 v27, 0x7f, v27
	v_lshrrev_b16_e32 v32, 1, v32
	v_and_b32_e32 v35, 0x7f, v35
	v_add_u16_sdwa v26, v27, v26 dst_sel:DWORD dst_unused:UNUSED_PAD src0_sel:DWORD src1_sel:BYTE_1
	v_and_b32_e32 v32, 0x7f, v32
	global_load_dwordx2 v[43:44], v[0:1], off
	v_add_u16_sdwa v0, v35, v34 dst_sel:DWORD dst_unused:UNUSED_PAD src0_sel:DWORD src1_sel:BYTE_1
	v_lshrrev_b16_e32 v26, 3, v26
	v_add_u16_sdwa v31, v32, v31 dst_sel:DWORD dst_unused:UNUSED_PAD src0_sel:DWORD src1_sel:BYTE_1
	v_lshrrev_b16_e32 v34, 3, v0
	v_mul_lo_u16_e32 v27, 11, v26
	v_lshrrev_b16_e32 v31, 3, v31
	v_mul_lo_u16_e32 v0, 11, v34
	v_sub_u16_e32 v27, v24, v27
	v_mov_b32_e32 v24, 3
	v_mul_lo_u16_e32 v32, 11, v31
	v_sub_u16_e32 v33, v33, v0
	v_lshlrev_b32_sdwa v29, v24, v27 dst_sel:DWORD dst_unused:UNUSED_PAD src0_sel:DWORD src1_sel:BYTE_0
	v_sub_u16_e32 v30, v30, v32
	v_lshlrev_b32_sdwa v0, v24, v33 dst_sel:DWORD dst_unused:UNUSED_PAD src0_sel:DWORD src1_sel:BYTE_0
	v_lshlrev_b32_sdwa v32, v24, v30 dst_sel:DWORD dst_unused:UNUSED_PAD src0_sel:DWORD src1_sel:BYTE_0
	global_load_dwordx2 v[45:46], v29, s[12:13]
	global_load_dwordx2 v[41:42], v32, s[12:13]
	;; [unrolled: 1-line block ×3, first 2 shown]
	v_add_u16_e32 v0, 0x58, v54
	v_mul_lo_u16_sdwa v1, v0, s2 dst_sel:DWORD dst_unused:UNUSED_PAD src0_sel:BYTE_0 src1_sel:DWORD
	v_sub_u16_sdwa v24, v0, v1 dst_sel:DWORD dst_unused:UNUSED_PAD src0_sel:DWORD src1_sel:BYTE_1
	v_lshrrev_b16_e32 v24, 1, v24
	v_and_b32_e32 v24, 0x7f, v24
	v_add_u16_sdwa v1, v24, v1 dst_sel:DWORD dst_unused:UNUSED_PAD src0_sel:DWORD src1_sel:BYTE_1
	v_lshrrev_b16_e32 v1, 3, v1
	v_mul_lo_u16_e32 v1, 11, v1
	v_sub_u16_e32 v59, v0, v1
	v_and_b32_e32 v24, 0xff, v59
	v_lshlrev_b32_e32 v0, 3, v24
	global_load_dwordx2 v[37:38], v0, s[12:13]
	v_cmp_lt_u16_e64 s[2:3], 10, v54
	s_load_dwordx4 s[4:7], s[6:7], 0x0
	s_waitcnt vmcnt(0) lgkmcnt(0)
	s_barrier
	v_mul_f32_e32 v0, v17, v44
	v_mul_f32_e32 v1, v16, v44
	v_fma_f32 v0, v16, v43, -v0
	v_fmac_f32_e32 v1, v17, v43
	v_sub_f32_e32 v16, v8, v0
	v_sub_f32_e32 v17, v9, v1
	v_fma_f32 v8, v8, 2.0, -v16
	v_fma_f32 v9, v9, 2.0, -v17
	v_mul_f32_e32 v0, v19, v46
	v_mul_f32_e32 v29, v21, v42
	;; [unrolled: 1-line block ×6, first 2 shown]
	v_fma_f32 v0, v18, v45, -v0
	v_fma_f32 v18, v20, v41, -v29
	;; [unrolled: 1-line block ×3, first 2 shown]
	v_fmac_f32_e32 v1, v19, v45
	v_fmac_f32_e32 v47, v23, v39
	;; [unrolled: 1-line block ×3, first 2 shown]
	v_sub_f32_e32 v18, v12, v18
	v_sub_f32_e32 v20, v14, v20
	v_mul_f32_e32 v22, v6, v38
	v_fmac_f32_e32 v22, v7, v37
	v_mul_f32_e32 v19, v7, v38
	v_sub_f32_e32 v7, v11, v1
	v_sub_f32_e32 v1, v5, v22
	v_cndmask_b32_e64 v22, 0, 22, s[2:3]
	v_add_u32_e32 v22, v25, v22
	v_add_lshl_u32 v60, v28, v22, 3
	ds_write2_b64 v60, v[8:9], v[16:17] offset1:11
	v_mad_legacy_u16 v8, v26, 22, v27
	v_fma_f32 v23, v6, v37, -v19
	v_sub_f32_e32 v6, v10, v0
	v_and_b32_e32 v8, 0xff, v8
	v_fma_f32 v10, v10, 2.0, -v6
	v_fma_f32 v11, v11, 2.0, -v7
	v_add_lshl_u32 v61, v28, v8, 3
	ds_write2_b64 v61, v[10:11], v[6:7] offset1:11
	v_mul_u32_u24_e32 v6, 22, v31
	v_add_u32_sdwa v6, v6, v30 dst_sel:DWORD dst_unused:UNUSED_PAD src0_sel:DWORD src1_sel:BYTE_0
	v_add_lshl_u32 v62, v28, v6, 3
	v_mul_u32_u24_e32 v6, 22, v34
	v_sub_f32_e32 v19, v13, v32
	v_sub_f32_e32 v21, v15, v47
	v_add_u32_sdwa v6, v6, v33 dst_sel:DWORD dst_unused:UNUSED_PAD src0_sel:DWORD src1_sel:BYTE_0
	v_fma_f32 v12, v12, 2.0, -v18
	v_fma_f32 v13, v13, 2.0, -v19
	;; [unrolled: 1-line block ×4, first 2 shown]
	v_sub_f32_e32 v0, v4, v23
	v_add_lshl_u32 v63, v28, v6, 3
	ds_write2_b64 v62, v[12:13], v[18:19] offset1:11
	ds_write2_b64 v63, v[14:15], v[20:21] offset1:11
	s_and_saveexec_b64 s[2:3], s[0:1]
	s_cbranch_execz .LBB0_11
; %bb.10:
	v_fma_f32 v5, v5, 2.0, -v1
	v_fma_f32 v4, v4, 2.0, -v0
	v_add_lshl_u32 v6, v28, v24, 3
	ds_write2_b64 v6, v[4:5], v[0:1] offset0:176 offset1:187
.LBB0_11:
	s_or_b64 exec, exec, s[2:3]
	v_lshlrev_b32_e32 v20, 6, v54
	s_waitcnt lgkmcnt(0)
	s_barrier
	global_load_dwordx4 v[16:19], v20, s[12:13] offset:88
	global_load_dwordx4 v[12:15], v20, s[12:13] offset:104
	;; [unrolled: 1-line block ×4, first 2 shown]
	ds_read2_b64 v[30:33], v58 offset1:22
	ds_read2_b64 v[20:23], v58 offset0:44 offset1:66
	ds_read2_b64 v[24:27], v58 offset0:88 offset1:110
	;; [unrolled: 1-line block ×3, first 2 shown]
	ds_read_b64 v[28:29], v58 offset:1408
	s_waitcnt lgkmcnt(4)
	v_mov_b32_e32 v35, v31
	v_mov_b32_e32 v34, v30
	s_mov_b32 s2, 0xbf248dbb
	s_waitcnt vmcnt(3)
	v_mul_f32_e32 v51, v33, v17
	v_mul_f32_e32 v52, v32, v17
	s_waitcnt vmcnt(2) lgkmcnt(2)
	v_mul_f32_e32 v67, v25, v15
	s_waitcnt vmcnt(0) lgkmcnt(0)
	v_mul_f32_e32 v75, v29, v7
	v_mul_f32_e32 v76, v28, v7
	;; [unrolled: 1-line block ×12, first 2 shown]
	v_fma_f32 v32, v32, v16, -v51
	v_fmac_f32_e32 v52, v33, v16
	v_fma_f32 v33, v24, v14, -v67
	v_fma_f32 v24, v28, v6, -v75
	v_fmac_f32_e32 v76, v29, v6
	v_mul_f32_e32 v69, v27, v9
	v_fma_f32 v20, v20, v18, -v57
	v_fmac_f32_e32 v64, v21, v18
	v_fma_f32 v21, v22, v12, -v65
	v_fmac_f32_e32 v66, v23, v12
	v_fmac_f32_e32 v68, v25, v14
	;; [unrolled: 1-line block ×3, first 2 shown]
	v_fma_f32 v22, v47, v10, -v71
	v_fmac_f32_e32 v72, v48, v10
	v_fma_f32 v23, v49, v4, -v73
	v_fmac_f32_e32 v74, v50, v4
	v_add_f32_e32 v49, v32, v24
	v_add_f32_e32 v50, v52, v76
	v_sub_f32_e32 v32, v32, v24
	v_sub_f32_e32 v47, v52, v76
	v_fma_f32 v51, v26, v8, -v69
	v_add_f32_e32 v57, v20, v23
	v_add_f32_e32 v65, v64, v74
	;; [unrolled: 1-line block ×4, first 2 shown]
	v_sub_f32_e32 v48, v20, v23
	v_sub_f32_e32 v52, v64, v74
	;; [unrolled: 1-line block ×5, first 2 shown]
	v_mul_f32_e32 v22, 0x3f248dbb, v32
	v_mul_f32_e32 v23, 0x3f248dbb, v47
	v_fmac_f32_e32 v35, 0x3f441b7d, v50
	v_mul_f32_e32 v24, 0xbf248dbb, v72
	v_fmac_f32_e32 v22, 0x3f7c1c5c, v48
	v_fmac_f32_e32 v23, 0x3f7c1c5c, v52
	;; [unrolled: 1-line block ×3, first 2 shown]
	v_sub_f32_e32 v71, v33, v51
	v_add_f32_e32 v74, v68, v70
	v_fmac_f32_e32 v24, 0x3f7c1c5c, v47
	v_fmac_f32_e32 v22, 0x3f5db3d7, v64
	;; [unrolled: 1-line block ×3, first 2 shown]
	v_fmac_f32_e32 v35, -0.5, v69
	v_fmac_f32_e32 v34, 0x3f441b7d, v49
	v_mul_f32_e32 v25, 0xbf248dbb, v71
	v_fmac_f32_e32 v24, 0xbf5db3d7, v66
	v_fmac_f32_e32 v22, 0x3eaf1d44, v71
	;; [unrolled: 1-line block ×4, first 2 shown]
	v_add_f32_e32 v28, v71, v32
	v_add_f32_e32 v29, v72, v47
	v_mul_f32_e32 v71, 0x3f7c1c5c, v71
	v_mul_f32_e32 v72, 0x3f7c1c5c, v72
	v_fmac_f32_e32 v34, 0x3e31d0d4, v57
	v_sub_f32_e32 v21, v35, v22
	v_fmac_f32_e32 v24, 0x3eaf1d44, v52
	v_sub_f32_e32 v35, v29, v52
	v_fma_f32 v71, v48, s2, -v71
	v_fma_f32 v52, v52, s2, -v72
	v_add_f32_e32 v73, v33, v51
	v_fmac_f32_e32 v34, -0.5, v67
	v_add_f32_e32 v77, v57, v49
	v_add_f32_e32 v78, v65, v50
	v_fmac_f32_e32 v71, 0x3f5db3d7, v64
	v_fmac_f32_e32 v52, 0x3f5db3d7, v66
	;; [unrolled: 1-line block ×6, first 2 shown]
	v_add_f32_e32 v32, v67, v77
	v_add_f32_e32 v47, v69, v78
	v_add_f32_e32 v20, v23, v34
	v_add_f32_e32 v32, v33, v32
	v_add_f32_e32 v33, v68, v47
	v_fmac_f32_e32 v25, 0xbf5db3d7, v64
	v_fma_f32 v26, -2.0, v23, v20
	v_fma_f32 v27, 2.0, v22, v21
	v_mov_b32_e32 v22, v30
	v_mov_b32_e32 v23, v31
	v_add_f32_e32 v32, v51, v32
	v_add_f32_e32 v33, v70, v33
	v_fmac_f32_e32 v25, 0x3eaf1d44, v48
	v_fmac_f32_e32 v22, 0x3f441b7d, v73
	;; [unrolled: 1-line block ×3, first 2 shown]
	v_sub_f32_e32 v34, v28, v48
	v_add_f32_e32 v28, v67, v30
	v_add_f32_e32 v29, v69, v31
	;; [unrolled: 1-line block ×4, first 2 shown]
	v_fmac_f32_e32 v30, 0x3f441b7d, v57
	v_fmac_f32_e32 v31, 0x3f441b7d, v65
	;; [unrolled: 1-line block ×6, first 2 shown]
	v_fmac_f32_e32 v22, -0.5, v67
	v_fmac_f32_e32 v23, -0.5, v69
	v_add_f32_e32 v79, v73, v77
	v_add_f32_e32 v80, v74, v78
	v_fmac_f32_e32 v30, -0.5, v67
	v_fmac_f32_e32 v31, -0.5, v69
	v_fmac_f32_e32 v22, 0xbf708fb2, v57
	v_fmac_f32_e32 v23, 0xbf708fb2, v65
	v_fmac_f32_e32 v28, -0.5, v79
	v_fmac_f32_e32 v29, -0.5, v80
	v_fmac_f32_e32 v30, 0xbf708fb2, v49
	v_fmac_f32_e32 v31, 0xbf708fb2, v50
	v_add_f32_e32 v22, v24, v22
	v_sub_f32_e32 v23, v23, v25
	v_mul_f32_e32 v75, 0x3f5db3d7, v34
	v_mul_f32_e32 v76, 0x3f5db3d7, v35
	v_fmac_f32_e32 v28, 0x3f5db3d7, v35
	v_fmac_f32_e32 v29, 0xbf5db3d7, v34
	v_add_f32_e32 v30, v52, v30
	v_sub_f32_e32 v31, v31, v71
	v_fma_f32 v24, -2.0, v24, v22
	v_fma_f32 v25, 2.0, v25, v23
	v_fma_f32 v34, -2.0, v76, v28
	v_fma_f32 v35, 2.0, v75, v29
	;; [unrolled: 2-line block ×3, first 2 shown]
	v_lshl_add_u32 v57, v54, 3, v55
	ds_write_b64 v57, v[47:48]
	ds_write2_b64 v57, v[20:21], v[22:23] offset0:22 offset1:44
	ds_write2_b64 v57, v[28:29], v[30:31] offset0:66 offset1:88
	;; [unrolled: 1-line block ×4, first 2 shown]
	s_waitcnt lgkmcnt(0)
	s_barrier
	s_and_saveexec_b64 s[2:3], vcc
	s_cbranch_execz .LBB0_13
; %bb.12:
	global_load_dwordx2 v[49:50], v53, s[8:9] offset:1584
	s_add_u32 s12, s8, 0x630
	s_addc_u32 s13, s9, 0
	global_load_dwordx2 v[80:81], v53, s[12:13] offset:144
	global_load_dwordx2 v[82:83], v53, s[12:13] offset:288
	global_load_dwordx2 v[84:85], v53, s[12:13] offset:432
	global_load_dwordx2 v[86:87], v53, s[12:13] offset:576
	global_load_dwordx2 v[88:89], v53, s[12:13] offset:720
	global_load_dwordx2 v[90:91], v53, s[12:13] offset:864
	global_load_dwordx2 v[92:93], v53, s[12:13] offset:1008
	global_load_dwordx2 v[94:95], v53, s[12:13] offset:1152
	global_load_dwordx2 v[96:97], v53, s[12:13] offset:1296
	global_load_dwordx2 v[98:99], v53, s[12:13] offset:1440
	ds_read_b64 v[51:52], v57
	s_waitcnt vmcnt(10) lgkmcnt(0)
	v_mul_f32_e32 v64, v52, v50
	v_mul_f32_e32 v65, v51, v50
	v_fma_f32 v64, v51, v49, -v64
	v_fmac_f32_e32 v65, v52, v49
	ds_write_b64 v57, v[64:65]
	ds_read2_b64 v[49:52], v57 offset0:18 offset1:36
	ds_read2_b64 v[64:67], v57 offset0:54 offset1:72
	;; [unrolled: 1-line block ×5, first 2 shown]
	s_waitcnt vmcnt(9) lgkmcnt(4)
	v_mul_f32_e32 v101, v50, v81
	v_mul_f32_e32 v100, v49, v81
	s_waitcnt vmcnt(8)
	v_mul_f32_e32 v102, v52, v83
	v_mul_f32_e32 v81, v51, v83
	s_waitcnt vmcnt(7) lgkmcnt(3)
	v_mul_f32_e32 v103, v65, v85
	v_mul_f32_e32 v83, v64, v85
	s_waitcnt vmcnt(6)
	v_mul_f32_e32 v104, v67, v87
	v_mul_f32_e32 v85, v66, v87
	;; [unrolled: 6-line block ×5, first 2 shown]
	v_fma_f32 v99, v49, v80, -v101
	v_fmac_f32_e32 v100, v50, v80
	v_fma_f32 v80, v51, v82, -v102
	v_fmac_f32_e32 v81, v52, v82
	v_fma_f32 v82, v64, v84, -v103
	v_fmac_f32_e32 v83, v65, v84
	v_fma_f32 v84, v66, v86, -v104
	v_fmac_f32_e32 v85, v67, v86
	v_fma_f32 v86, v68, v88, -v105
	v_fmac_f32_e32 v87, v69, v88
	v_fma_f32 v88, v70, v90, -v106
	v_fmac_f32_e32 v89, v71, v90
	v_fma_f32 v90, v72, v92, -v107
	v_fmac_f32_e32 v91, v73, v92
	v_fma_f32 v92, v74, v94, -v108
	v_fmac_f32_e32 v93, v75, v94
	v_fma_f32 v94, v76, v96, -v109
	v_fmac_f32_e32 v95, v77, v96
	v_fma_f32 v96, v78, v98, -v110
	v_fmac_f32_e32 v97, v79, v98
	ds_write2_b64 v57, v[99:100], v[80:81] offset0:18 offset1:36
	ds_write2_b64 v57, v[82:83], v[84:85] offset0:54 offset1:72
	;; [unrolled: 1-line block ×5, first 2 shown]
.LBB0_13:
	s_or_b64 exec, exec, s[2:3]
	s_waitcnt lgkmcnt(0)
	s_barrier
	s_and_saveexec_b64 s[2:3], vcc
	s_cbranch_execz .LBB0_15
; %bb.14:
	ds_read_b64 v[47:48], v57
	ds_read2_b64 v[20:23], v57 offset0:18 offset1:36
	ds_read2_b64 v[28:31], v57 offset0:54 offset1:72
	;; [unrolled: 1-line block ×5, first 2 shown]
.LBB0_15:
	s_or_b64 exec, exec, s[2:3]
	s_waitcnt lgkmcnt(0)
	v_sub_f32_e32 v74, v21, v3
	v_add_f32_e32 v64, v2, v20
	v_add_f32_e32 v76, v3, v21
	s_mov_b32 s12, 0x3ed4b147
	v_mul_f32_e32 v77, 0xbf68dda4, v74
	v_sub_f32_e32 v75, v23, v1
	v_mul_f32_e32 v80, 0x3ed4b147, v76
	v_fma_f32 v49, v64, s12, -v77
	v_add_f32_e32 v66, v0, v22
	v_add_f32_e32 v79, v1, v23
	s_mov_b32 s14, 0xbf27a4f4
	v_mul_f32_e32 v82, 0xbf4178ce, v75
	v_sub_f32_e32 v65, v20, v2
	v_add_f32_e32 v49, v47, v49
	v_mov_b32_e32 v50, v80
	v_mul_f32_e32 v85, 0xbf27a4f4, v79
	v_fma_f32 v68, v66, s14, -v82
	v_fmac_f32_e32 v50, 0xbf68dda4, v65
	s_mov_b32 s13, 0xbe11bafb
	v_mul_f32_e32 v84, 0xbf7d64f0, v74
	v_sub_f32_e32 v67, v22, v0
	v_add_f32_e32 v49, v68, v49
	v_mov_b32_e32 v68, v85
	v_add_f32_e32 v50, v48, v50
	v_mul_f32_e32 v89, 0xbe11bafb, v76
	v_fma_f32 v51, v64, s13, -v84
	v_fmac_f32_e32 v68, 0xbf4178ce, v67
	s_mov_b32 s15, 0xbf75a155
	v_mul_f32_e32 v90, 0x3e903f40, v75
	v_add_f32_e32 v51, v47, v51
	v_mov_b32_e32 v52, v89
	v_add_f32_e32 v50, v68, v50
	v_mul_f32_e32 v94, 0xbf75a155, v79
	v_fma_f32 v68, v66, s15, -v90
	v_fmac_f32_e32 v52, 0xbf7d64f0, v65
	v_add_f32_e32 v51, v68, v51
	v_mov_b32_e32 v68, v94
	v_add_f32_e32 v52, v48, v52
	v_fmac_f32_e32 v68, 0x3e903f40, v67
	v_sub_f32_e32 v78, v29, v27
	v_add_f32_e32 v52, v68, v52
	v_add_f32_e32 v68, v26, v28
	;; [unrolled: 1-line block ×3, first 2 shown]
	v_mul_f32_e32 v88, 0x3e903f40, v78
	v_mul_f32_e32 v91, 0xbf75a155, v83
	v_fma_f32 v70, v68, s15, -v88
	v_sub_f32_e32 v69, v28, v26
	v_add_f32_e32 v49, v70, v49
	v_mov_b32_e32 v70, v91
	v_fmac_f32_e32 v70, 0x3e903f40, v69
	v_mul_f32_e32 v95, 0x3f68dda4, v78
	v_add_f32_e32 v50, v70, v50
	v_mul_f32_e32 v98, 0x3ed4b147, v83
	v_fma_f32 v70, v68, s12, -v95
	v_add_f32_e32 v51, v70, v51
	v_mov_b32_e32 v70, v98
	v_fmac_f32_e32 v70, 0x3f68dda4, v69
	v_sub_f32_e32 v81, v31, v25
	v_add_f32_e32 v52, v70, v52
	v_add_f32_e32 v70, v24, v30
	;; [unrolled: 1-line block ×3, first 2 shown]
	v_mul_f32_e32 v93, 0x3f7d64f0, v81
	v_mul_f32_e32 v96, 0xbe11bafb, v87
	v_fma_f32 v72, v70, s13, -v93
	v_sub_f32_e32 v71, v30, v24
	v_add_f32_e32 v49, v72, v49
	v_mov_b32_e32 v72, v96
	v_fmac_f32_e32 v72, 0x3f7d64f0, v71
	s_mov_b32 s16, 0x3f575c64
	v_mul_f32_e32 v99, 0xbf0a6770, v81
	v_add_f32_e32 v50, v72, v50
	v_mul_f32_e32 v101, 0x3f575c64, v87
	v_fma_f32 v72, v70, s16, -v99
	v_add_f32_e32 v51, v72, v51
	v_mov_b32_e32 v72, v101
	v_fmac_f32_e32 v72, 0xbf0a6770, v71
	v_sub_f32_e32 v86, v33, v35
	v_add_f32_e32 v52, v72, v52
	v_add_f32_e32 v72, v34, v32
	;; [unrolled: 1-line block ×3, first 2 shown]
	v_mul_f32_e32 v97, 0x3f0a6770, v86
	v_mul_f32_e32 v100, 0x3f575c64, v92
	v_fma_f32 v102, v72, s16, -v97
	v_sub_f32_e32 v73, v32, v34
	v_add_f32_e32 v49, v102, v49
	v_mov_b32_e32 v102, v100
	v_fmac_f32_e32 v102, 0x3f0a6770, v73
	v_add_f32_e32 v50, v102, v50
	v_mul_f32_e32 v102, 0xbf4178ce, v86
	v_mul_f32_e32 v103, 0xbf27a4f4, v92
	v_fma_f32 v104, v72, s14, -v102
	v_add_f32_e32 v51, v104, v51
	v_mov_b32_e32 v104, v103
	v_fmac_f32_e32 v104, 0xbf4178ce, v73
	v_add_f32_e32 v52, v104, v52
	s_barrier
	s_and_saveexec_b64 s[2:3], vcc
	s_cbranch_execz .LBB0_17
; %bb.16:
	v_mul_f32_e32 v113, 0xbf7d64f0, v65
	v_mul_f32_e32 v106, 0xbe903f40, v65
	;; [unrolled: 1-line block ×3, first 2 shown]
	v_mov_b32_e32 v104, v106
	v_mul_f32_e32 v107, 0x3f0a6770, v67
	v_sub_f32_e32 v89, v89, v113
	v_mul_f32_e32 v121, 0x3f68dda4, v69
	v_fmac_f32_e32 v104, 0xbf75a155, v76
	v_mov_b32_e32 v105, v107
	v_add_f32_e32 v89, v48, v89
	v_sub_f32_e32 v94, v94, v117
	v_mul_f32_e32 v125, 0xbf0a6770, v71
	v_add_f32_e32 v104, v48, v104
	v_fmac_f32_e32 v105, 0x3f575c64, v79
	v_mul_f32_e32 v108, 0xbf4178ce, v69
	v_add_f32_e32 v89, v94, v89
	v_sub_f32_e32 v94, v98, v121
	v_mul_f32_e32 v112, 0xbe11bafb, v64
	v_mul_f32_e32 v129, 0xbf4178ce, v73
	v_add_f32_e32 v104, v105, v104
	v_mov_b32_e32 v105, v108
	v_add_f32_e32 v89, v94, v89
	v_sub_f32_e32 v94, v101, v125
	v_add_f32_e32 v21, v21, v48
	v_mul_f32_e32 v116, 0xbf75a155, v66
	v_fmac_f32_e32 v105, 0xbf27a4f4, v83
	v_mul_f32_e32 v109, 0x3f68dda4, v71
	v_add_f32_e32 v89, v94, v89
	v_sub_f32_e32 v94, v103, v129
	v_add_f32_e32 v84, v112, v84
	v_add_f32_e32 v21, v23, v21
	v_mul_f32_e32 v120, 0x3ed4b147, v68
	v_add_f32_e32 v104, v105, v104
	v_mov_b32_e32 v105, v109
	v_fma_f32 v106, v76, s15, -v106
	v_add_f32_e32 v103, v94, v89
	v_add_f32_e32 v84, v47, v84
	;; [unrolled: 1-line block ×4, first 2 shown]
	v_mul_f32_e32 v124, 0x3f575c64, v70
	v_fmac_f32_e32 v105, 0x3ed4b147, v87
	v_mul_f32_e32 v130, 0xbf7d64f0, v73
	v_add_f32_e32 v106, v48, v106
	v_fma_f32 v107, v79, s16, -v107
	v_add_f32_e32 v84, v89, v84
	v_add_f32_e32 v89, v120, v95
	;; [unrolled: 1-line block ×3, first 2 shown]
	v_mul_f32_e32 v111, 0xbf68dda4, v65
	v_mul_f32_e32 v128, 0xbf27a4f4, v72
	v_add_f32_e32 v104, v105, v104
	v_mov_b32_e32 v105, v130
	v_add_f32_e32 v106, v107, v106
	v_fma_f32 v107, v83, s14, -v108
	v_add_f32_e32 v84, v89, v84
	v_add_f32_e32 v89, v124, v99
	;; [unrolled: 1-line block ×3, first 2 shown]
	v_mul_f32_e32 v115, 0xbf4178ce, v67
	v_fmac_f32_e32 v105, 0xbe11bafb, v92
	v_mul_f32_e32 v131, 0xbe903f40, v74
	v_add_f32_e32 v106, v107, v106
	v_fma_f32 v107, v87, s12, -v109
	v_add_f32_e32 v84, v89, v84
	v_add_f32_e32 v89, v128, v102
	v_sub_f32_e32 v80, v80, v111
	v_add_f32_e32 v21, v35, v21
	v_mul_f32_e32 v119, 0x3e903f40, v69
	v_add_f32_e32 v105, v105, v104
	v_fma_f32 v104, v64, s15, -v131
	v_add_f32_e32 v106, v107, v106
	v_fma_f32 v107, v92, s13, -v130
	v_fmac_f32_e32 v131, 0xbf75a155, v64
	v_mul_f32_e32 v130, 0xbf27a4f4, v76
	v_add_f32_e32 v102, v89, v84
	v_add_f32_e32 v80, v48, v80
	v_sub_f32_e32 v84, v85, v115
	v_add_f32_e32 v21, v25, v21
	v_mul_f32_e32 v123, 0x3f7d64f0, v71
	v_mul_f32_e32 v132, 0x3f0a6770, v75
	v_add_f32_e32 v107, v107, v106
	v_add_f32_e32 v106, v47, v131
	v_mov_b32_e32 v108, v130
	v_mul_f32_e32 v131, 0xbe11bafb, v79
	v_add_f32_e32 v80, v84, v80
	v_sub_f32_e32 v84, v91, v119
	v_add_f32_e32 v21, v27, v21
	v_mul_f32_e32 v110, 0x3ed4b147, v64
	v_mul_f32_e32 v127, 0x3f0a6770, v73
	v_add_f32_e32 v104, v47, v104
	v_fma_f32 v133, v66, s16, -v132
	v_fmac_f32_e32 v132, 0x3f575c64, v66
	v_fmac_f32_e32 v108, 0x3f4178ce, v65
	v_mov_b32_e32 v109, v131
	v_add_f32_e32 v80, v84, v80
	v_sub_f32_e32 v84, v96, v123
	v_add_f32_e32 v1, v1, v21
	v_mul_f32_e32 v114, 0xbf27a4f4, v66
	v_add_f32_e32 v104, v133, v104
	v_mul_f32_e32 v133, 0xbf4178ce, v78
	v_add_f32_e32 v106, v132, v106
	v_add_f32_e32 v108, v48, v108
	v_fmac_f32_e32 v109, 0xbf7d64f0, v67
	v_mul_f32_e32 v132, 0x3f575c64, v83
	v_add_f32_e32 v80, v84, v80
	v_sub_f32_e32 v84, v100, v127
	v_add_f32_e32 v77, v110, v77
	v_add_f32_e32 v1, v3, v1
	;; [unrolled: 1-line block ×3, first 2 shown]
	v_mul_f32_e32 v118, 0xbf75a155, v68
	v_fma_f32 v134, v68, s14, -v133
	v_fmac_f32_e32 v133, 0xbf27a4f4, v68
	v_add_f32_e32 v108, v109, v108
	v_mov_b32_e32 v109, v132
	v_add_f32_e32 v85, v84, v80
	v_add_f32_e32 v77, v47, v77
	;; [unrolled: 1-line block ×4, first 2 shown]
	v_mul_f32_e32 v122, 0xbe11bafb, v70
	v_add_f32_e32 v104, v134, v104
	v_mul_f32_e32 v134, 0x3f68dda4, v81
	v_add_f32_e32 v106, v133, v106
	v_fmac_f32_e32 v109, 0x3f0a6770, v69
	v_mul_f32_e32 v133, 0xbf75a155, v87
	v_add_f32_e32 v77, v80, v77
	v_add_f32_e32 v80, v118, v88
	;; [unrolled: 1-line block ×3, first 2 shown]
	v_mul_f32_e32 v126, 0x3f575c64, v72
	v_fma_f32 v135, v70, s12, -v134
	v_fmac_f32_e32 v134, 0x3ed4b147, v70
	v_add_f32_e32 v108, v109, v108
	v_mov_b32_e32 v109, v133
	v_add_f32_e32 v77, v80, v77
	v_add_f32_e32 v80, v122, v93
	;; [unrolled: 1-line block ×4, first 2 shown]
	v_mul_f32_e32 v135, 0xbf7d64f0, v86
	v_add_f32_e32 v106, v134, v106
	v_fmac_f32_e32 v109, 0x3e903f40, v71
	v_mul_f32_e32 v134, 0x3ed4b147, v92
	v_add_f32_e32 v77, v80, v77
	v_add_f32_e32 v80, v126, v97
	;; [unrolled: 1-line block ×3, first 2 shown]
	v_fma_f32 v136, v72, s13, -v135
	v_fmac_f32_e32 v135, 0xbe11bafb, v72
	v_add_f32_e32 v108, v109, v108
	v_mov_b32_e32 v109, v134
	v_add_f32_e32 v84, v80, v77
	v_mul_f32_e32 v77, 0x3f575c64, v76
	v_add_f32_e32 v3, v34, v3
	v_add_f32_e32 v106, v135, v106
	v_fmac_f32_e32 v109, 0xbf68dda4, v73
	v_mul_f32_e32 v135, 0xbf4178ce, v74
	v_mov_b32_e32 v76, v77
	v_mul_f32_e32 v79, 0x3ed4b147, v79
	v_add_f32_e32 v3, v24, v3
	v_add_f32_e32 v104, v136, v104
	;; [unrolled: 1-line block ×3, first 2 shown]
	v_mov_b32_e32 v108, v135
	v_mul_f32_e32 v136, 0x3f7d64f0, v75
	v_fmac_f32_e32 v76, 0x3f0a6770, v65
	v_mov_b32_e32 v80, v79
	v_add_f32_e32 v3, v26, v3
	v_fmac_f32_e32 v108, 0xbf27a4f4, v64
	v_mov_b32_e32 v137, v136
	v_add_f32_e32 v76, v48, v76
	v_fmac_f32_e32 v80, 0x3f68dda4, v67
	v_add_f32_e32 v0, v0, v3
	v_fmac_f32_e32 v130, 0xbf4178ce, v65
	;; [unrolled: 2-line block ×3, first 2 shown]
	v_add_f32_e32 v76, v80, v76
	v_mul_f32_e32 v80, 0xbe11bafb, v83
	v_add_f32_e32 v0, v2, v0
	v_add_f32_e32 v2, v48, v130
	v_fmac_f32_e32 v131, 0x3f7d64f0, v67
	v_add_f32_e32 v108, v137, v108
	v_mul_f32_e32 v137, 0xbf0a6770, v78
	v_mov_b32_e32 v82, v80
	v_add_f32_e32 v2, v131, v2
	v_fmac_f32_e32 v132, 0xbf0a6770, v69
	v_mov_b32_e32 v138, v137
	v_fmac_f32_e32 v82, 0x3f7d64f0, v69
	v_add_f32_e32 v2, v132, v2
	v_fmac_f32_e32 v133, 0xbe903f40, v71
	v_fmac_f32_e32 v138, 0x3f575c64, v68
	v_add_f32_e32 v76, v82, v76
	v_mul_f32_e32 v82, 0xbf27a4f4, v87
	v_add_f32_e32 v2, v133, v2
	v_fmac_f32_e32 v134, 0x3f68dda4, v73
	v_add_f32_e32 v108, v138, v108
	v_mul_f32_e32 v138, 0xbe903f40, v81
	v_mov_b32_e32 v83, v82
	v_add_f32_e32 v3, v134, v2
	v_fma_f32 v2, v64, s14, -v135
	v_mov_b32_e32 v139, v138
	v_fmac_f32_e32 v83, 0x3f4178ce, v71
	v_add_f32_e32 v2, v47, v2
	v_fma_f32 v20, v66, s13, -v136
	v_fmac_f32_e32 v139, 0xbf75a155, v70
	v_add_f32_e32 v76, v83, v76
	v_mul_f32_e32 v83, 0xbf75a155, v92
	v_add_f32_e32 v2, v20, v2
	v_fma_f32 v20, v68, s16, -v137
	v_add_f32_e32 v108, v139, v108
	v_mul_f32_e32 v139, 0x3f68dda4, v86
	v_mov_b32_e32 v87, v83
	v_add_f32_e32 v2, v20, v2
	v_fma_f32 v20, v70, s15, -v138
	v_fmac_f32_e32 v87, 0x3e903f40, v73
	v_mul_f32_e32 v74, 0xbf0a6770, v74
	v_add_f32_e32 v2, v20, v2
	v_fma_f32 v20, v72, s12, -v139
	v_fmac_f32_e32 v77, 0xbf0a6770, v65
	v_add_f32_e32 v76, v87, v76
	v_mov_b32_e32 v87, v74
	v_mul_f32_e32 v88, 0xbf68dda4, v75
	v_add_f32_e32 v2, v20, v2
	v_add_f32_e32 v20, v48, v77
	v_fmac_f32_e32 v79, 0xbf68dda4, v67
	v_fmac_f32_e32 v87, 0x3f575c64, v64
	v_mov_b32_e32 v75, v88
	v_add_f32_e32 v20, v79, v20
	v_fmac_f32_e32 v80, 0xbf7d64f0, v69
	v_add_f32_e32 v87, v47, v87
	v_fmac_f32_e32 v75, 0x3ed4b147, v66
	v_mul_f32_e32 v78, 0xbf7d64f0, v78
	v_add_f32_e32 v20, v80, v20
	v_fmac_f32_e32 v82, 0xbf4178ce, v71
	v_add_f32_e32 v75, v75, v87
	v_mov_b32_e32 v87, v78
	v_add_f32_e32 v20, v82, v20
	v_fmac_f32_e32 v83, 0xbe903f40, v73
	v_fmac_f32_e32 v87, 0xbe11bafb, v68
	v_mul_f32_e32 v81, 0xbf4178ce, v81
	v_add_f32_e32 v21, v83, v20
	v_fma_f32 v20, v64, s16, -v74
	v_add_f32_e32 v75, v87, v75
	v_mov_b32_e32 v87, v81
	v_add_f32_e32 v20, v47, v20
	v_fma_f32 v22, v66, s12, -v88
	v_fmac_f32_e32 v87, 0xbf27a4f4, v70
	v_mul_f32_e32 v86, 0xbe903f40, v86
	v_add_f32_e32 v20, v22, v20
	v_fma_f32 v22, v68, s13, -v78
	v_add_f32_e32 v75, v87, v75
	v_mov_b32_e32 v87, v86
	v_add_f32_e32 v20, v22, v20
	v_fma_f32 v22, v70, s14, -v81
	v_mov_b32_e32 v140, v139
	v_fmac_f32_e32 v87, 0xbf75a155, v72
	v_add_f32_e32 v20, v22, v20
	v_fma_f32 v22, v72, s15, -v86
	v_fmac_f32_e32 v140, 0x3ed4b147, v72
	v_add_f32_e32 v75, v87, v75
	v_add_f32_e32 v20, v22, v20
	v_lshl_add_u32 v22, v56, 3, v55
	v_add_f32_e32 v108, v140, v108
	ds_write2_b64 v22, v[0:1], v[75:76] offset1:1
	ds_write2_b64 v22, v[84:85], v[102:103] offset0:2 offset1:3
	ds_write2_b64 v22, v[108:109], v[106:107] offset0:4 offset1:5
	;; [unrolled: 1-line block ×4, first 2 shown]
	ds_write_b64 v22, v[20:21] offset:80
.LBB0_17:
	s_or_b64 exec, exec, s[2:3]
	s_waitcnt lgkmcnt(0)
	s_barrier
	ds_read2_b64 v[20:23], v58 offset1:22
	ds_read2_b64 v[28:31], v58 offset0:99 offset1:121
	ds_read2_b64 v[0:3], v58 offset0:44 offset1:66
	;; [unrolled: 1-line block ×3, first 2 shown]
	s_and_saveexec_b64 s[2:3], s[0:1]
	s_cbranch_execz .LBB0_19
; %bb.18:
	ds_read_b64 v[51:52], v58 offset:704
	ds_read_b64 v[49:50], v58 offset:1496
.LBB0_19:
	s_or_b64 exec, exec, s[2:3]
	s_waitcnt lgkmcnt(2)
	v_mul_f32_e32 v32, v44, v29
	v_fmac_f32_e32 v32, v43, v28
	v_mul_f32_e32 v28, v44, v28
	v_fma_f32 v28, v43, v29, -v28
	v_mul_f32_e32 v29, v46, v31
	v_fmac_f32_e32 v29, v45, v30
	v_mul_f32_e32 v30, v46, v30
	v_fma_f32 v30, v45, v31, -v30
	s_waitcnt lgkmcnt(0)
	v_mul_f32_e32 v31, v42, v25
	v_fmac_f32_e32 v31, v41, v24
	v_mul_f32_e32 v24, v42, v24
	v_fma_f32 v33, v41, v25, -v24
	v_mul_f32_e32 v34, v40, v27
	v_mul_f32_e32 v24, v40, v26
	v_fmac_f32_e32 v34, v39, v26
	v_fma_f32 v35, v39, v27, -v24
	v_sub_f32_e32 v24, v20, v32
	v_sub_f32_e32 v25, v21, v28
	v_fma_f32 v20, v20, 2.0, -v24
	v_fma_f32 v21, v21, 2.0, -v25
	v_sub_f32_e32 v26, v22, v29
	v_sub_f32_e32 v27, v23, v30
	;; [unrolled: 1-line block ×6, first 2 shown]
	v_fma_f32 v22, v22, 2.0, -v26
	v_fma_f32 v23, v23, 2.0, -v27
	;; [unrolled: 1-line block ×6, first 2 shown]
	s_barrier
	ds_write2_b64 v60, v[20:21], v[24:25] offset1:11
	ds_write2_b64 v61, v[22:23], v[26:27] offset1:11
	ds_write2_b64 v62, v[0:1], v[28:29] offset1:11
	ds_write2_b64 v63, v[2:3], v[30:31] offset1:11
	s_and_saveexec_b64 s[2:3], s[0:1]
	s_cbranch_execz .LBB0_21
; %bb.20:
	v_mul_f32_e32 v0, v38, v49
	v_fma_f32 v0, v37, v50, -v0
	v_sub_f32_e32 v1, v52, v0
	v_mul_f32_e32 v0, v38, v50
	v_fmac_f32_e32 v0, v37, v49
	v_sub_f32_e32 v0, v51, v0
	v_and_b32_e32 v20, 0xff, v59
	v_fma_f32 v3, v52, 2.0, -v1
	v_fma_f32 v2, v51, 2.0, -v0
	v_lshl_add_u32 v20, v20, 3, v55
	ds_write2_b64 v20, v[2:3], v[0:1] offset0:176 offset1:187
.LBB0_21:
	s_or_b64 exec, exec, s[2:3]
	s_waitcnt lgkmcnt(0)
	s_barrier
	ds_read2_b64 v[0:3], v58 offset1:22
	ds_read2_b64 v[20:23], v58 offset0:44 offset1:66
	ds_read2_b64 v[24:27], v58 offset0:88 offset1:110
	ds_read2_b64 v[28:31], v58 offset0:132 offset1:154
	ds_read_b64 v[32:33], v58 offset:1408
	s_waitcnt lgkmcnt(4)
	v_mul_f32_e32 v34, v17, v3
	v_fmac_f32_e32 v34, v16, v2
	v_mul_f32_e32 v2, v17, v2
	v_fma_f32 v2, v16, v3, -v2
	s_waitcnt lgkmcnt(3)
	v_mul_f32_e32 v3, v19, v21
	v_mul_f32_e32 v16, v19, v20
	;; [unrolled: 1-line block ×4, first 2 shown]
	v_fmac_f32_e32 v3, v18, v20
	v_fma_f32 v16, v18, v21, -v16
	v_fmac_f32_e32 v17, v12, v22
	v_fma_f32 v12, v12, v23, -v13
	s_waitcnt lgkmcnt(2)
	v_mul_f32_e32 v18, v15, v25
	v_mul_f32_e32 v13, v15, v24
	v_mul_f32_e32 v15, v9, v27
	v_mul_f32_e32 v9, v9, v26
	v_fmac_f32_e32 v15, v8, v26
	v_fma_f32 v19, v8, v27, -v9
	s_waitcnt lgkmcnt(1)
	v_mul_f32_e32 v8, v11, v29
	v_mul_f32_e32 v9, v11, v28
	v_fmac_f32_e32 v8, v10, v28
	v_fma_f32 v9, v10, v29, -v9
	v_mul_f32_e32 v10, v5, v31
	v_mul_f32_e32 v5, v5, v30
	v_fmac_f32_e32 v10, v4, v30
	v_fma_f32 v4, v4, v31, -v5
	s_waitcnt lgkmcnt(0)
	v_mul_f32_e32 v5, v7, v33
	v_fmac_f32_e32 v5, v6, v32
	v_fmac_f32_e32 v18, v14, v24
	v_sub_f32_e32 v26, v34, v5
	v_add_f32_e32 v20, v34, v5
	v_sub_f32_e32 v28, v3, v10
	v_mul_f32_e32 v5, 0x3f248dbb, v26
	v_sub_f32_e32 v30, v18, v15
	v_fma_f32 v14, v14, v25, -v13
	v_add_f32_e32 v24, v17, v8
	v_add_f32_e32 v25, v12, v9
	v_sub_f32_e32 v17, v17, v8
	v_sub_f32_e32 v29, v12, v9
	v_fmac_f32_e32 v5, 0x3f7c1c5c, v28
	v_mul_f32_e32 v9, 0xbf248dbb, v30
	v_mul_f32_e32 v7, v7, v32
	v_fmac_f32_e32 v5, 0x3f5db3d7, v17
	v_fmac_f32_e32 v9, 0x3f7c1c5c, v26
	v_fma_f32 v6, v6, v33, -v7
	v_add_f32_e32 v22, v3, v10
	v_fmac_f32_e32 v5, 0x3eaf1d44, v30
	s_mov_b32 s0, 0xbf248dbb
	v_fmac_f32_e32 v9, 0xbf5db3d7, v17
	v_add_f32_e32 v10, v30, v26
	v_mul_f32_e32 v30, 0x3f7c1c5c, v30
	v_add_f32_e32 v21, v2, v6
	v_add_f32_e32 v23, v16, v4
	v_fmac_f32_e32 v9, 0x3eaf1d44, v28
	v_sub_f32_e32 v12, v10, v28
	v_fma_f32 v28, v28, s0, -v30
	v_sub_f32_e32 v27, v2, v6
	v_add_f32_e32 v37, v22, v20
	v_add_f32_e32 v38, v23, v21
	v_fmac_f32_e32 v28, 0x3f5db3d7, v17
	v_sub_f32_e32 v16, v16, v4
	v_mul_f32_e32 v4, 0x3f248dbb, v27
	v_sub_f32_e32 v31, v14, v19
	v_fmac_f32_e32 v28, 0x3eaf1d44, v26
	v_add_f32_e32 v17, v24, v37
	v_add_f32_e32 v26, v25, v38
	v_fmac_f32_e32 v4, 0x3f7c1c5c, v16
	v_add_f32_e32 v33, v14, v19
	v_mul_f32_e32 v8, 0xbf248dbb, v31
	v_add_f32_e32 v17, v18, v17
	v_add_f32_e32 v14, v14, v26
	v_fmac_f32_e32 v4, 0x3f5db3d7, v29
	v_mov_b32_e32 v2, v0
	v_mov_b32_e32 v3, v1
	v_add_f32_e32 v32, v18, v15
	v_fmac_f32_e32 v8, 0x3f7c1c5c, v27
	v_add_f32_e32 v11, v31, v27
	v_add_f32_e32 v15, v15, v17
	;; [unrolled: 1-line block ×3, first 2 shown]
	v_fmac_f32_e32 v4, 0x3eaf1d44, v31
	v_fmac_f32_e32 v2, 0x3f441b7d, v20
	;; [unrolled: 1-line block ×4, first 2 shown]
	v_mov_b32_e32 v6, v0
	v_mov_b32_e32 v7, v1
	v_sub_f32_e32 v13, v11, v16
	v_add_f32_e32 v10, v24, v0
	v_add_f32_e32 v11, v25, v1
	v_mul_f32_e32 v31, 0x3f7c1c5c, v31
	v_add_f32_e32 v14, v15, v0
	v_add_f32_e32 v15, v17, v1
	v_fmac_f32_e32 v0, 0x3f441b7d, v22
	v_fmac_f32_e32 v1, 0x3f441b7d, v23
	;; [unrolled: 1-line block ×7, first 2 shown]
	v_fma_f32 v16, v16, s0, -v31
	v_fmac_f32_e32 v0, 0x3e31d0d4, v32
	v_fmac_f32_e32 v1, 0x3e31d0d4, v33
	v_fmac_f32_e32 v2, -0.5, v24
	v_fmac_f32_e32 v3, -0.5, v25
	v_fmac_f32_e32 v6, 0x3e31d0d4, v20
	v_fmac_f32_e32 v7, 0x3e31d0d4, v21
	;; [unrolled: 1-line block ×3, first 2 shown]
	v_fmac_f32_e32 v0, -0.5, v24
	v_fmac_f32_e32 v1, -0.5, v25
	v_fmac_f32_e32 v2, 0xbf708fb2, v32
	v_fmac_f32_e32 v3, 0xbf708fb2, v33
	v_fmac_f32_e32 v6, -0.5, v24
	v_fmac_f32_e32 v7, -0.5, v25
	v_add_f32_e32 v39, v32, v37
	v_add_f32_e32 v40, v33, v38
	v_fmac_f32_e32 v16, 0x3eaf1d44, v27
	v_fmac_f32_e32 v0, 0xbf708fb2, v20
	;; [unrolled: 1-line block ×3, first 2 shown]
	v_sub_f32_e32 v2, v2, v4
	v_add_f32_e32 v3, v5, v3
	v_fmac_f32_e32 v6, 0xbf708fb2, v22
	v_fmac_f32_e32 v7, 0xbf708fb2, v23
	v_fmac_f32_e32 v10, -0.5, v39
	v_fmac_f32_e32 v11, -0.5, v40
	v_sub_f32_e32 v0, v0, v16
	v_add_f32_e32 v1, v28, v1
	v_fma_f32 v4, 2.0, v4, v2
	v_fma_f32 v5, -2.0, v5, v3
	v_sub_f32_e32 v6, v6, v8
	v_add_f32_e32 v7, v9, v7
	v_mul_f32_e32 v34, 0x3f5db3d7, v12
	v_mul_f32_e32 v35, 0x3f5db3d7, v13
	v_fmac_f32_e32 v10, 0xbf5db3d7, v13
	v_fmac_f32_e32 v11, 0x3f5db3d7, v12
	ds_write_b64 v57, v[14:15]
	ds_write2_b64 v57, v[2:3], v[6:7] offset0:22 offset1:44
	v_mov_b32_e32 v3, v1
	v_mov_b32_e32 v2, v0
	v_fma_f32 v8, 2.0, v8, v6
	v_fma_f32 v9, -2.0, v9, v7
	v_fma_f32 v12, 2.0, v35, v10
	v_fma_f32 v13, -2.0, v34, v11
	v_fmac_f32_e32 v3, -2.0, v28
	v_fmac_f32_e32 v2, 2.0, v16
	ds_write2_b64 v57, v[10:11], v[0:1] offset0:66 offset1:88
	ds_write2_b64 v57, v[2:3], v[12:13] offset0:110 offset1:132
	;; [unrolled: 1-line block ×3, first 2 shown]
	s_waitcnt lgkmcnt(0)
	s_barrier
	s_and_b64 exec, exec, vcc
	s_cbranch_execz .LBB0_23
; %bb.22:
	global_load_dwordx2 v[8:9], v53, s[8:9]
	global_load_dwordx2 v[10:11], v53, s[8:9] offset:144
	global_load_dwordx2 v[12:13], v53, s[8:9] offset:288
	;; [unrolled: 1-line block ×4, first 2 shown]
	ds_read_b64 v[20:21], v57
	ds_read2_b64 v[0:3], v57 offset0:18 offset1:36
	ds_read2_b64 v[4:7], v57 offset0:54 offset1:72
	global_load_dwordx2 v[24:25], v53, s[8:9] offset:720
	global_load_dwordx2 v[26:27], v53, s[8:9] offset:864
	;; [unrolled: 1-line block ×3, first 2 shown]
	v_mad_u64_u32 v[18:19], s[0:1], s6, v36, 0
	v_mad_u64_u32 v[22:23], s[2:3], s4, v54, 0
	s_mul_i32 s3, s5, 0x90
	s_mul_hi_u32 s6, s4, 0x90
	s_add_i32 s3, s6, s3
	s_waitcnt lgkmcnt(2)
	v_mad_u64_u32 v[30:31], s[6:7], s7, v36, v[19:20]
	s_mul_i32 s2, s4, 0x90
	v_mov_b32_e32 v33, s11
	v_mov_b32_e32 v19, v30
	v_lshlrev_b64 v[18:19], 3, v[18:19]
	v_mov_b32_e32 v34, s3
	v_add_co_u32_e32 v18, vcc, s10, v18
	v_addc_co_u32_e32 v19, vcc, v33, v19, vcc
	s_mov_b32 s0, 0xa052bf5b
	s_mov_b32 s1, 0x3f74afd6
	s_waitcnt vmcnt(6) lgkmcnt(1)
	v_mul_f32_e32 v33, v1, v11
	v_mul_f32_e32 v11, v0, v11
	s_waitcnt vmcnt(4) lgkmcnt(0)
	v_mul_f32_e32 v35, v5, v15
	v_mul_f32_e32 v15, v4, v15
	s_waitcnt vmcnt(3)
	v_mul_f32_e32 v36, v7, v17
	s_waitcnt vmcnt(2)
	v_mad_u64_u32 v[31:32], s[4:5], s5, v54, v[23:24]
	v_mov_b32_e32 v32, s3
	v_mul_f32_e32 v17, v6, v17
	v_mov_b32_e32 v23, v31
	v_lshlrev_b64 v[22:23], 3, v[22:23]
	v_fmac_f32_e32 v33, v0, v10
	v_add_co_u32_e32 v18, vcc, v18, v22
	v_addc_co_u32_e32 v19, vcc, v19, v23, vcc
	v_add_co_u32_e32 v22, vcc, s2, v18
	v_addc_co_u32_e32 v23, vcc, v19, v32, vcc
	v_add_co_u32_e32 v30, vcc, s2, v22
	v_mul_f32_e32 v32, v21, v9
	v_mul_f32_e32 v9, v20, v9
	v_addc_co_u32_e32 v31, vcc, v23, v34, vcc
	v_mul_f32_e32 v34, v3, v13
	v_mul_f32_e32 v13, v2, v13
	v_fmac_f32_e32 v32, v20, v8
	v_fma_f32 v8, v8, v21, -v9
	v_fma_f32 v9, v10, v1, -v11
	v_fmac_f32_e32 v34, v2, v12
	v_fma_f32 v10, v12, v3, -v13
	v_cvt_f64_f32_e32 v[0:1], v32
	v_cvt_f64_f32_e32 v[2:3], v8
	v_fmac_f32_e32 v35, v4, v14
	v_fma_f32 v14, v14, v5, -v15
	v_fmac_f32_e32 v36, v6, v16
	v_fma_f32 v37, v16, v7, -v17
	v_cvt_f64_f32_e32 v[4:5], v33
	v_cvt_f64_f32_e32 v[6:7], v9
	;; [unrolled: 1-line block ×4, first 2 shown]
	global_load_dwordx2 v[20:21], v53, s[8:9] offset:1152
	v_mul_f64 v[0:1], v[0:1], s[0:1]
	v_mul_f64 v[2:3], v[2:3], s[0:1]
	;; [unrolled: 1-line block ×6, first 2 shown]
	v_cvt_f64_f32_e32 v[14:15], v14
	v_cvt_f64_f32_e32 v[12:13], v35
	v_cvt_f32_f64_e32 v0, v[0:1]
	v_cvt_f32_f64_e32 v1, v[2:3]
	;; [unrolled: 1-line block ×6, first 2 shown]
	global_store_dwordx2 v[18:19], v[0:1], off
	global_store_dwordx2 v[22:23], v[2:3], off
	;; [unrolled: 1-line block ×3, first 2 shown]
	v_mul_f64 v[14:15], v[14:15], s[0:1]
	global_load_dwordx2 v[4:5], v53, s[8:9] offset:1296
	v_mul_f64 v[12:13], v[12:13], s[0:1]
	v_cvt_f64_f32_e32 v[0:1], v37
	v_cvt_f64_f32_e32 v[16:17], v36
	v_mul_f64 v[10:11], v[0:1], s[0:1]
	v_cvt_f32_f64_e32 v7, v[14:15]
	global_load_dwordx2 v[14:15], v53, s[8:9] offset:1440
	ds_read2_b64 v[0:3], v57 offset0:90 offset1:108
	v_cvt_f32_f64_e32 v6, v[12:13]
	v_mov_b32_e32 v13, s3
	v_add_co_u32_e32 v12, vcc, s2, v30
	v_addc_co_u32_e32 v13, vcc, v31, v13, vcc
	global_store_dwordx2 v[12:13], v[6:7], off
	s_waitcnt lgkmcnt(0)
	v_mul_f32_e32 v6, v1, v25
	v_fmac_f32_e32 v6, v0, v24
	v_cvt_f64_f32_e32 v[6:7], v6
	v_mul_f32_e32 v0, v0, v25
	v_fma_f32 v0, v24, v1, -v0
	v_mul_f64 v[8:9], v[16:17], s[0:1]
	v_mul_f64 v[6:7], v[6:7], s[0:1]
	v_cvt_f64_f32_e32 v[0:1], v0
	v_mov_b32_e32 v16, s3
	v_mul_f64 v[0:1], v[0:1], s[0:1]
	v_cvt_f32_f64_e32 v8, v[8:9]
	v_cvt_f32_f64_e32 v6, v[6:7]
	s_waitcnt vmcnt(8)
	v_mul_f32_e32 v7, v3, v27
	v_fmac_f32_e32 v7, v2, v26
	v_mul_f32_e32 v2, v2, v27
	v_fma_f32 v2, v26, v3, -v2
	v_cvt_f32_f64_e32 v9, v[10:11]
	v_cvt_f64_f32_e32 v[2:3], v2
	v_mov_b32_e32 v11, s3
	v_add_co_u32_e32 v10, vcc, s2, v12
	v_addc_co_u32_e32 v11, vcc, v13, v11, vcc
	global_store_dwordx2 v[10:11], v[8:9], off
	v_cvt_f64_f32_e32 v[8:9], v7
	v_cvt_f32_f64_e32 v7, v[0:1]
	v_mul_f64 v[12:13], v[2:3], s[0:1]
	ds_read2_b64 v[0:3], v57 offset0:126 offset1:144
	v_add_co_u32_e32 v10, vcc, s2, v10
	v_addc_co_u32_e32 v11, vcc, v11, v16, vcc
	global_store_dwordx2 v[10:11], v[6:7], off
	s_waitcnt vmcnt(9) lgkmcnt(0)
	v_mul_f32_e32 v6, v1, v29
	v_fmac_f32_e32 v6, v0, v28
	v_cvt_f64_f32_e32 v[6:7], v6
	v_mul_f64 v[8:9], v[8:9], s[0:1]
	v_mul_f32_e32 v0, v0, v29
	v_fma_f32 v0, v28, v1, -v0
	v_mul_f64 v[6:7], v[6:7], s[0:1]
	v_cvt_f64_f32_e32 v[0:1], v0
	v_add_co_u32_e32 v10, vcc, s2, v10
	v_cvt_f32_f64_e32 v8, v[8:9]
	v_cvt_f32_f64_e32 v9, v[12:13]
	v_mov_b32_e32 v12, s3
	v_mul_f64 v[0:1], v[0:1], s[0:1]
	v_cvt_f32_f64_e32 v6, v[6:7]
	s_waitcnt vmcnt(8)
	v_mul_f32_e32 v7, v3, v21
	v_addc_co_u32_e32 v11, vcc, v11, v12, vcc
	v_fmac_f32_e32 v7, v2, v20
	global_store_dwordx2 v[10:11], v[8:9], off
	v_cvt_f64_f32_e32 v[8:9], v7
	v_mul_f32_e32 v2, v2, v21
	v_fma_f32 v2, v20, v3, -v2
	v_cvt_f64_f32_e32 v[2:3], v2
	v_mul_f64 v[8:9], v[8:9], s[0:1]
	v_cvt_f32_f64_e32 v7, v[0:1]
	v_mov_b32_e32 v0, s3
	v_add_co_u32_e32 v10, vcc, s2, v10
	v_mul_f64 v[12:13], v[2:3], s[0:1]
	v_addc_co_u32_e32 v11, vcc, v11, v0, vcc
	ds_read2_b64 v[0:3], v57 offset0:162 offset1:180
	global_store_dwordx2 v[10:11], v[6:7], off
	v_cvt_f32_f64_e32 v6, v[8:9]
	s_waitcnt vmcnt(6) lgkmcnt(0)
	v_mul_f32_e32 v8, v1, v5
	v_fmac_f32_e32 v8, v0, v4
	v_mul_f32_e32 v0, v0, v5
	v_fma_f32 v0, v4, v1, -v0
	v_cvt_f32_f64_e32 v7, v[12:13]
	v_cvt_f64_f32_e32 v[8:9], v8
	v_cvt_f64_f32_e32 v[0:1], v0
	v_mov_b32_e32 v12, s3
	v_add_co_u32_e32 v4, vcc, s2, v10
	v_addc_co_u32_e32 v5, vcc, v11, v12, vcc
	global_store_dwordx2 v[4:5], v[6:7], off
	v_mul_f64 v[6:7], v[8:9], s[0:1]
	v_mul_f64 v[0:1], v[0:1], s[0:1]
	s_waitcnt vmcnt(6)
	v_mul_f32_e32 v8, v3, v15
	v_fmac_f32_e32 v8, v2, v14
	v_mul_f32_e32 v2, v2, v15
	v_fma_f32 v2, v14, v3, -v2
	v_cvt_f64_f32_e32 v[8:9], v8
	v_cvt_f64_f32_e32 v[2:3], v2
	v_cvt_f32_f64_e32 v6, v[6:7]
	v_cvt_f32_f64_e32 v7, v[0:1]
	v_mul_f64 v[0:1], v[8:9], s[0:1]
	v_mul_f64 v[2:3], v[2:3], s[0:1]
	v_mov_b32_e32 v8, s3
	v_add_co_u32_e32 v4, vcc, s2, v4
	v_addc_co_u32_e32 v5, vcc, v5, v8, vcc
	global_store_dwordx2 v[4:5], v[6:7], off
	v_cvt_f32_f64_e32 v0, v[0:1]
	v_cvt_f32_f64_e32 v1, v[2:3]
	v_mov_b32_e32 v3, s3
	v_add_co_u32_e32 v2, vcc, s2, v4
	v_addc_co_u32_e32 v3, vcc, v5, v3, vcc
	global_store_dwordx2 v[2:3], v[0:1], off
.LBB0_23:
	s_endpgm
	.section	.rodata,"a",@progbits
	.p2align	6, 0x0
	.amdhsa_kernel bluestein_single_back_len198_dim1_sp_op_CI_CI
		.amdhsa_group_segment_fixed_size 7920
		.amdhsa_private_segment_fixed_size 0
		.amdhsa_kernarg_size 104
		.amdhsa_user_sgpr_count 6
		.amdhsa_user_sgpr_private_segment_buffer 1
		.amdhsa_user_sgpr_dispatch_ptr 0
		.amdhsa_user_sgpr_queue_ptr 0
		.amdhsa_user_sgpr_kernarg_segment_ptr 1
		.amdhsa_user_sgpr_dispatch_id 0
		.amdhsa_user_sgpr_flat_scratch_init 0
		.amdhsa_user_sgpr_private_segment_size 0
		.amdhsa_uses_dynamic_stack 0
		.amdhsa_system_sgpr_private_segment_wavefront_offset 0
		.amdhsa_system_sgpr_workgroup_id_x 1
		.amdhsa_system_sgpr_workgroup_id_y 0
		.amdhsa_system_sgpr_workgroup_id_z 0
		.amdhsa_system_sgpr_workgroup_info 0
		.amdhsa_system_vgpr_workitem_id 0
		.amdhsa_next_free_vgpr 141
		.amdhsa_next_free_sgpr 17
		.amdhsa_reserve_vcc 1
		.amdhsa_reserve_flat_scratch 0
		.amdhsa_float_round_mode_32 0
		.amdhsa_float_round_mode_16_64 0
		.amdhsa_float_denorm_mode_32 3
		.amdhsa_float_denorm_mode_16_64 3
		.amdhsa_dx10_clamp 1
		.amdhsa_ieee_mode 1
		.amdhsa_fp16_overflow 0
		.amdhsa_exception_fp_ieee_invalid_op 0
		.amdhsa_exception_fp_denorm_src 0
		.amdhsa_exception_fp_ieee_div_zero 0
		.amdhsa_exception_fp_ieee_overflow 0
		.amdhsa_exception_fp_ieee_underflow 0
		.amdhsa_exception_fp_ieee_inexact 0
		.amdhsa_exception_int_div_zero 0
	.end_amdhsa_kernel
	.text
.Lfunc_end0:
	.size	bluestein_single_back_len198_dim1_sp_op_CI_CI, .Lfunc_end0-bluestein_single_back_len198_dim1_sp_op_CI_CI
                                        ; -- End function
	.section	.AMDGPU.csdata,"",@progbits
; Kernel info:
; codeLenInByte = 10004
; NumSgprs: 21
; NumVgprs: 141
; ScratchSize: 0
; MemoryBound: 0
; FloatMode: 240
; IeeeMode: 1
; LDSByteSize: 7920 bytes/workgroup (compile time only)
; SGPRBlocks: 2
; VGPRBlocks: 35
; NumSGPRsForWavesPerEU: 21
; NumVGPRsForWavesPerEU: 141
; Occupancy: 1
; WaveLimiterHint : 1
; COMPUTE_PGM_RSRC2:SCRATCH_EN: 0
; COMPUTE_PGM_RSRC2:USER_SGPR: 6
; COMPUTE_PGM_RSRC2:TRAP_HANDLER: 0
; COMPUTE_PGM_RSRC2:TGID_X_EN: 1
; COMPUTE_PGM_RSRC2:TGID_Y_EN: 0
; COMPUTE_PGM_RSRC2:TGID_Z_EN: 0
; COMPUTE_PGM_RSRC2:TIDIG_COMP_CNT: 0
	.type	__hip_cuid_178b621f67d651ed,@object ; @__hip_cuid_178b621f67d651ed
	.section	.bss,"aw",@nobits
	.globl	__hip_cuid_178b621f67d651ed
__hip_cuid_178b621f67d651ed:
	.byte	0                               ; 0x0
	.size	__hip_cuid_178b621f67d651ed, 1

	.ident	"AMD clang version 19.0.0git (https://github.com/RadeonOpenCompute/llvm-project roc-6.4.0 25133 c7fe45cf4b819c5991fe208aaa96edf142730f1d)"
	.section	".note.GNU-stack","",@progbits
	.addrsig
	.addrsig_sym __hip_cuid_178b621f67d651ed
	.amdgpu_metadata
---
amdhsa.kernels:
  - .args:
      - .actual_access:  read_only
        .address_space:  global
        .offset:         0
        .size:           8
        .value_kind:     global_buffer
      - .actual_access:  read_only
        .address_space:  global
        .offset:         8
        .size:           8
        .value_kind:     global_buffer
      - .actual_access:  read_only
        .address_space:  global
        .offset:         16
        .size:           8
        .value_kind:     global_buffer
      - .actual_access:  read_only
        .address_space:  global
        .offset:         24
        .size:           8
        .value_kind:     global_buffer
      - .actual_access:  read_only
        .address_space:  global
        .offset:         32
        .size:           8
        .value_kind:     global_buffer
      - .offset:         40
        .size:           8
        .value_kind:     by_value
      - .address_space:  global
        .offset:         48
        .size:           8
        .value_kind:     global_buffer
      - .address_space:  global
        .offset:         56
        .size:           8
        .value_kind:     global_buffer
      - .address_space:  global
        .offset:         64
        .size:           8
        .value_kind:     global_buffer
      - .address_space:  global
        .offset:         72
        .size:           8
        .value_kind:     global_buffer
      - .offset:         80
        .size:           4
        .value_kind:     by_value
      - .address_space:  global
        .offset:         88
        .size:           8
        .value_kind:     global_buffer
      - .address_space:  global
        .offset:         96
        .size:           8
        .value_kind:     global_buffer
    .group_segment_fixed_size: 7920
    .kernarg_segment_align: 8
    .kernarg_segment_size: 104
    .language:       OpenCL C
    .language_version:
      - 2
      - 0
    .max_flat_workgroup_size: 110
    .name:           bluestein_single_back_len198_dim1_sp_op_CI_CI
    .private_segment_fixed_size: 0
    .sgpr_count:     21
    .sgpr_spill_count: 0
    .symbol:         bluestein_single_back_len198_dim1_sp_op_CI_CI.kd
    .uniform_work_group_size: 1
    .uses_dynamic_stack: false
    .vgpr_count:     141
    .vgpr_spill_count: 0
    .wavefront_size: 64
amdhsa.target:   amdgcn-amd-amdhsa--gfx906
amdhsa.version:
  - 1
  - 2
...

	.end_amdgpu_metadata
